;; amdgpu-corpus repo=ROCm/rocFFT kind=compiled arch=gfx950 opt=O3
	.text
	.amdgcn_target "amdgcn-amd-amdhsa--gfx950"
	.amdhsa_code_object_version 6
	.protected	fft_rtc_fwd_len1250_factors_5_10_5_5_wgs_250_tpt_250_halfLds_sp_op_CI_CI_unitstride_sbrr_dirReg ; -- Begin function fft_rtc_fwd_len1250_factors_5_10_5_5_wgs_250_tpt_250_halfLds_sp_op_CI_CI_unitstride_sbrr_dirReg
	.globl	fft_rtc_fwd_len1250_factors_5_10_5_5_wgs_250_tpt_250_halfLds_sp_op_CI_CI_unitstride_sbrr_dirReg
	.p2align	8
	.type	fft_rtc_fwd_len1250_factors_5_10_5_5_wgs_250_tpt_250_halfLds_sp_op_CI_CI_unitstride_sbrr_dirReg,@function
fft_rtc_fwd_len1250_factors_5_10_5_5_wgs_250_tpt_250_halfLds_sp_op_CI_CI_unitstride_sbrr_dirReg: ; @fft_rtc_fwd_len1250_factors_5_10_5_5_wgs_250_tpt_250_halfLds_sp_op_CI_CI_unitstride_sbrr_dirReg
; %bb.0:
	s_load_dwordx4 s[4:7], s[0:1], 0x58
	s_load_dwordx4 s[8:11], s[0:1], 0x0
	;; [unrolled: 1-line block ×3, first 2 shown]
	v_mul_u32_u24_e32 v1, 0x107, v0
	v_add_u32_sdwa v8, s2, v1 dst_sel:DWORD dst_unused:UNUSED_PAD src0_sel:DWORD src1_sel:WORD_1
	v_mov_b32_e32 v6, 0
	s_waitcnt lgkmcnt(0)
	v_cmp_lt_u64_e64 s[2:3], s[10:11], 2
	v_mov_b32_e32 v9, v6
	s_and_b64 vcc, exec, s[2:3]
	v_mov_b64_e32 v[10:11], 0
	s_cbranch_vccnz .LBB0_8
; %bb.1:
	s_load_dwordx2 s[2:3], s[0:1], 0x10
	s_add_u32 s16, s14, 8
	s_addc_u32 s17, s15, 0
	s_add_u32 s18, s12, 8
	s_addc_u32 s19, s13, 0
	s_waitcnt lgkmcnt(0)
	s_add_u32 s20, s2, 8
	v_mov_b64_e32 v[10:11], 0
	s_addc_u32 s21, s3, 0
	s_mov_b64 s[22:23], 1
	v_mov_b64_e32 v[2:3], v[10:11]
.LBB0_2:                                ; =>This Inner Loop Header: Depth=1
	s_load_dwordx2 s[24:25], s[20:21], 0x0
                                        ; implicit-def: $vgpr4_vgpr5
	s_waitcnt lgkmcnt(0)
	v_or_b32_e32 v7, s25, v9
	v_cmp_ne_u64_e32 vcc, 0, v[6:7]
	s_and_saveexec_b64 s[2:3], vcc
	s_xor_b64 s[26:27], exec, s[2:3]
	s_cbranch_execz .LBB0_4
; %bb.3:                                ;   in Loop: Header=BB0_2 Depth=1
	v_cvt_f32_u32_e32 v1, s24
	v_cvt_f32_u32_e32 v4, s25
	s_sub_u32 s2, 0, s24
	s_subb_u32 s3, 0, s25
	v_fmac_f32_e32 v1, 0x4f800000, v4
	v_rcp_f32_e32 v1, v1
	s_nop 0
	v_mul_f32_e32 v1, 0x5f7ffffc, v1
	v_mul_f32_e32 v4, 0x2f800000, v1
	v_trunc_f32_e32 v4, v4
	v_fmac_f32_e32 v1, 0xcf800000, v4
	v_cvt_u32_f32_e32 v7, v4
	v_cvt_u32_f32_e32 v1, v1
	v_mul_lo_u32 v4, s2, v7
	v_mul_hi_u32 v12, s2, v1
	v_mul_lo_u32 v5, s3, v1
	v_add_u32_e32 v12, v12, v4
	v_mul_lo_u32 v14, s2, v1
	v_add_u32_e32 v15, v12, v5
	v_mul_hi_u32 v4, v1, v14
	v_mul_hi_u32 v13, v1, v15
	v_mul_lo_u32 v12, v1, v15
	v_mov_b32_e32 v5, v6
	v_lshl_add_u64 v[4:5], v[4:5], 0, v[12:13]
	v_mul_hi_u32 v13, v7, v14
	v_mul_lo_u32 v14, v7, v14
	v_add_co_u32_e32 v4, vcc, v4, v14
	v_mul_hi_u32 v12, v7, v15
	s_nop 0
	v_addc_co_u32_e32 v4, vcc, v5, v13, vcc
	v_mov_b32_e32 v5, v6
	s_nop 0
	v_addc_co_u32_e32 v13, vcc, 0, v12, vcc
	v_mul_lo_u32 v12, v7, v15
	v_lshl_add_u64 v[4:5], v[4:5], 0, v[12:13]
	v_add_co_u32_e32 v1, vcc, v1, v4
	v_mul_lo_u32 v12, s2, v1
	s_nop 0
	v_addc_co_u32_e32 v7, vcc, v7, v5, vcc
	v_mul_lo_u32 v4, s2, v7
	v_mul_hi_u32 v5, s2, v1
	v_add_u32_e32 v4, v5, v4
	v_mul_lo_u32 v5, s3, v1
	v_add_u32_e32 v14, v4, v5
	v_mul_hi_u32 v16, v7, v12
	v_mul_lo_u32 v17, v7, v12
	v_mul_hi_u32 v5, v1, v14
	v_mul_lo_u32 v4, v1, v14
	v_mul_hi_u32 v12, v1, v12
	v_mov_b32_e32 v13, v6
	v_lshl_add_u64 v[4:5], v[12:13], 0, v[4:5]
	v_add_co_u32_e32 v4, vcc, v4, v17
	v_mul_hi_u32 v15, v7, v14
	s_nop 0
	v_addc_co_u32_e32 v4, vcc, v5, v16, vcc
	v_mul_lo_u32 v12, v7, v14
	s_nop 0
	v_addc_co_u32_e32 v13, vcc, 0, v15, vcc
	v_mov_b32_e32 v5, v6
	v_lshl_add_u64 v[4:5], v[4:5], 0, v[12:13]
	v_add_co_u32_e32 v1, vcc, v1, v4
	v_mul_hi_u32 v12, v8, v1
	s_nop 0
	v_addc_co_u32_e32 v7, vcc, v7, v5, vcc
	v_mad_u64_u32 v[4:5], s[2:3], v8, v7, 0
	v_mov_b32_e32 v13, v6
	v_lshl_add_u64 v[4:5], v[12:13], 0, v[4:5]
	v_mad_u64_u32 v[14:15], s[2:3], v9, v1, 0
	v_add_co_u32_e32 v1, vcc, v4, v14
	v_mad_u64_u32 v[12:13], s[2:3], v9, v7, 0
	s_nop 0
	v_addc_co_u32_e32 v4, vcc, v5, v15, vcc
	v_mov_b32_e32 v5, v6
	s_nop 0
	v_addc_co_u32_e32 v13, vcc, 0, v13, vcc
	v_lshl_add_u64 v[4:5], v[4:5], 0, v[12:13]
	v_mul_lo_u32 v1, s25, v4
	v_mul_lo_u32 v7, s24, v5
	v_mad_u64_u32 v[12:13], s[2:3], s24, v4, 0
	v_add3_u32 v1, v13, v7, v1
	v_sub_u32_e32 v7, v9, v1
	v_mov_b32_e32 v13, s25
	v_sub_co_u32_e32 v16, vcc, v8, v12
	v_lshl_add_u64 v[14:15], v[4:5], 0, 1
	s_nop 0
	v_subb_co_u32_e64 v7, s[2:3], v7, v13, vcc
	v_subrev_co_u32_e64 v12, s[2:3], s24, v16
	v_subb_co_u32_e32 v1, vcc, v9, v1, vcc
	s_nop 0
	v_subbrev_co_u32_e64 v7, s[2:3], 0, v7, s[2:3]
	v_cmp_le_u32_e64 s[2:3], s25, v7
	v_cmp_le_u32_e32 vcc, s25, v1
	s_nop 0
	v_cndmask_b32_e64 v13, 0, -1, s[2:3]
	v_cmp_le_u32_e64 s[2:3], s24, v12
	s_nop 1
	v_cndmask_b32_e64 v12, 0, -1, s[2:3]
	v_cmp_eq_u32_e64 s[2:3], s25, v7
	s_nop 1
	v_cndmask_b32_e64 v7, v13, v12, s[2:3]
	v_lshl_add_u64 v[12:13], v[4:5], 0, 2
	v_cmp_ne_u32_e64 s[2:3], 0, v7
	s_nop 1
	v_cndmask_b32_e64 v7, v15, v13, s[2:3]
	v_cndmask_b32_e64 v13, 0, -1, vcc
	v_cmp_le_u32_e32 vcc, s24, v16
	s_nop 1
	v_cndmask_b32_e64 v15, 0, -1, vcc
	v_cmp_eq_u32_e32 vcc, s25, v1
	s_nop 1
	v_cndmask_b32_e32 v1, v13, v15, vcc
	v_cmp_ne_u32_e32 vcc, 0, v1
	v_cndmask_b32_e64 v1, v14, v12, s[2:3]
	s_nop 0
	v_cndmask_b32_e32 v5, v5, v7, vcc
	v_cndmask_b32_e32 v4, v4, v1, vcc
.LBB0_4:                                ;   in Loop: Header=BB0_2 Depth=1
	s_andn2_saveexec_b64 s[2:3], s[26:27]
	s_cbranch_execz .LBB0_6
; %bb.5:                                ;   in Loop: Header=BB0_2 Depth=1
	v_cvt_f32_u32_e32 v1, s24
	s_sub_i32 s26, 0, s24
	v_rcp_iflag_f32_e32 v1, v1
	s_nop 0
	v_mul_f32_e32 v1, 0x4f7ffffe, v1
	v_cvt_u32_f32_e32 v1, v1
	v_mul_lo_u32 v4, s26, v1
	v_mul_hi_u32 v4, v1, v4
	v_add_u32_e32 v1, v1, v4
	v_mul_hi_u32 v1, v8, v1
	v_mul_lo_u32 v4, v1, s24
	v_sub_u32_e32 v4, v8, v4
	v_add_u32_e32 v5, 1, v1
	v_subrev_u32_e32 v7, s24, v4
	v_cmp_le_u32_e32 vcc, s24, v4
	s_nop 1
	v_cndmask_b32_e32 v4, v4, v7, vcc
	v_cndmask_b32_e32 v1, v1, v5, vcc
	v_add_u32_e32 v5, 1, v1
	v_cmp_le_u32_e32 vcc, s24, v4
	s_nop 1
	v_cndmask_b32_e32 v4, v1, v5, vcc
	v_mov_b32_e32 v5, v6
.LBB0_6:                                ;   in Loop: Header=BB0_2 Depth=1
	s_or_b64 exec, exec, s[2:3]
	v_mad_u64_u32 v[12:13], s[2:3], v4, s24, 0
	s_load_dwordx2 s[2:3], s[18:19], 0x0
	v_mul_lo_u32 v1, v5, s24
	v_mul_lo_u32 v7, v4, s25
	s_load_dwordx2 s[24:25], s[16:17], 0x0
	s_add_u32 s22, s22, 1
	v_add3_u32 v1, v13, v7, v1
	v_sub_co_u32_e32 v7, vcc, v8, v12
	s_addc_u32 s23, s23, 0
	s_nop 0
	v_subb_co_u32_e32 v1, vcc, v9, v1, vcc
	s_add_u32 s16, s16, 8
	s_waitcnt lgkmcnt(0)
	v_mul_lo_u32 v8, s2, v1
	v_mul_lo_u32 v9, s3, v7
	v_mad_u64_u32 v[10:11], s[2:3], s2, v7, v[10:11]
	s_addc_u32 s17, s17, 0
	v_add3_u32 v11, v9, v11, v8
	v_mul_lo_u32 v1, s24, v1
	v_mul_lo_u32 v8, s25, v7
	v_mad_u64_u32 v[2:3], s[2:3], s24, v7, v[2:3]
	s_add_u32 s18, s18, 8
	v_add3_u32 v3, v8, v3, v1
	s_addc_u32 s19, s19, 0
	v_mov_b64_e32 v[8:9], s[10:11]
	s_add_u32 s20, s20, 8
	v_cmp_ge_u64_e32 vcc, s[22:23], v[8:9]
	s_addc_u32 s21, s21, 0
	s_cbranch_vccnz .LBB0_9
; %bb.7:                                ;   in Loop: Header=BB0_2 Depth=1
	v_mov_b64_e32 v[8:9], v[4:5]
	s_branch .LBB0_2
.LBB0_8:
	v_mov_b64_e32 v[2:3], v[10:11]
	v_mov_b64_e32 v[4:5], v[8:9]
.LBB0_9:
	s_load_dwordx2 s[18:19], s[0:1], 0x28
	s_lshl_b64 s[16:17], s[10:11], 3
	s_add_u32 s2, s14, s16
	s_addc_u32 s3, s15, s17
                                        ; implicit-def: $sgpr14_sgpr15
                                        ; implicit-def: $vgpr6
	s_waitcnt lgkmcnt(0)
	v_cmp_gt_u64_e64 s[0:1], s[18:19], v[4:5]
	v_cmp_le_u64_e32 vcc, s[18:19], v[4:5]
	s_and_saveexec_b64 s[10:11], vcc
	s_xor_b64 s[10:11], exec, s[10:11]
; %bb.10:
	s_mov_b32 s14, 0x10624de
	v_mul_hi_u32 v1, v0, s14
	v_mul_u32_u24_e32 v1, 0xfa, v1
	v_sub_u32_e32 v6, v0, v1
	s_mov_b64 s[14:15], 0
                                        ; implicit-def: $vgpr0
                                        ; implicit-def: $vgpr10_vgpr11
; %bb.11:
	s_or_saveexec_b64 s[10:11], s[10:11]
	v_mov_b64_e32 v[8:9], s[14:15]
                                        ; implicit-def: $vgpr29
                                        ; implicit-def: $vgpr12
                                        ; implicit-def: $vgpr24
                                        ; implicit-def: $vgpr30
                                        ; implicit-def: $vgpr22
                                        ; implicit-def: $vgpr26
	s_xor_b64 exec, exec, s[10:11]
	s_cbranch_execz .LBB0_13
; %bb.12:
	s_add_u32 s12, s12, s16
	s_addc_u32 s13, s13, s17
	s_load_dwordx2 s[12:13], s[12:13], 0x0
	s_mov_b32 s14, 0x10624de
	v_mov_b32_e32 v7, 0
	s_waitcnt lgkmcnt(0)
	v_mul_lo_u32 v1, s13, v4
	v_mul_lo_u32 v6, s12, v5
	v_mad_u64_u32 v[8:9], s[12:13], s12, v4, 0
	v_add3_u32 v9, v9, v6, v1
	v_mul_hi_u32 v1, v0, s14
	v_mul_u32_u24_e32 v1, 0xfa, v1
	v_sub_u32_e32 v6, v0, v1
	v_lshl_add_u64 v[0:1], v[8:9], 3, s[4:5]
	v_lshl_add_u64 v[0:1], v[10:11], 3, v[0:1]
	v_lshlrev_b32_e32 v8, 3, v6
	v_mov_b32_e32 v9, v7
	v_lshl_add_u64 v[0:1], v[0:1], 0, v[8:9]
	global_load_dwordx2 v[12:13], v[0:1], off
	global_load_dwordx2 v[22:23], v[0:1], off offset:2000
	global_load_dwordx2 v[10:11], v[0:1], off offset:4000
	v_add_co_u32_e32 v0, vcc, 0x1000, v0
	v_mov_b64_e32 v[8:9], v[6:7]
	s_nop 0
	v_addc_co_u32_e32 v1, vcc, 0, v1, vcc
	global_load_dwordx2 v[14:15], v[0:1], off offset:1904
	global_load_dwordx2 v[26:27], v[0:1], off offset:3904
	s_waitcnt vmcnt(4)
	v_mov_b32_e32 v24, v13
	s_waitcnt vmcnt(3)
	v_mov_b32_e32 v25, v22
	;; [unrolled: 2-line block ×3, first 2 shown]
	v_mov_b32_e32 v22, v11
	s_waitcnt vmcnt(1)
	v_mov_b32_e32 v30, v14
	s_waitcnt vmcnt(0)
	v_mov_b32_e32 v31, v26
	v_mov_b32_e32 v26, v15
.LBB0_13:
	s_or_b64 exec, exec, s[10:11]
	v_mov_b32_e32 v14, v31
	v_mov_b32_e32 v15, v30
	;; [unrolled: 1-line block ×3, first 2 shown]
	v_pk_add_f32 v[16:17], v[30:31], v[14:15] neg_lo:[0,1] neg_hi:[0,1]
	v_pk_add_f32 v[14:15], v[14:15], v[28:29]
	v_mov_b32_e32 v18, v29
	v_mov_b32_e32 v19, v25
	s_load_dwordx2 s[2:3], s[2:3], 0x0
	v_add_f32_e32 v0, v25, v12
	v_pk_add_f32 v[10:11], v[22:23], v[26:27] neg_lo:[0,1] neg_hi:[0,1]
	v_pk_fma_f32 v[12:13], -0.5, v[14:15], v[12:13] op_sel_hi:[0,1,0]
	s_mov_b32 s10, 0x3f737871
	s_mov_b32 s4, 0x3f167918
	v_pk_add_f32 v[18:19], v[18:19], v[28:29] neg_lo:[0,1] neg_hi:[0,1]
	v_pk_mul_f32 v[14:15], v[10:11], s[4:5] op_sel_hi:[1,0]
	v_pk_add_f32 v[16:17], v[16:17], v[18:19]
	v_pk_fma_f32 v[18:19], v[10:11], s[10:11], v[12:13] op_sel_hi:[1,0,1] neg_lo:[1,0,0] neg_hi:[1,0,0]
	v_pk_fma_f32 v[10:11], v[10:11], s[10:11], v[12:13] op_sel_hi:[1,0,1]
	v_add_f32_e32 v0, v29, v0
	v_mov_b32_e32 v12, v18
	v_mov_b32_e32 v13, v11
	;; [unrolled: 1-line block ×3, first 2 shown]
	v_add_f32_e32 v0, v30, v0
	s_mov_b32 s12, 0x3e9e377a
	v_pk_add_f32 v[12:13], v[14:15], v[12:13] op_sel:[1,0] op_sel_hi:[0,1]
	v_pk_add_f32 v[10:11], v[10:11], v[14:15] op_sel:[0,1] op_sel_hi:[1,0] neg_lo:[0,1] neg_hi:[0,1]
	s_movk_i32 s5, 0x7d
	v_add_f32_e32 v0, v31, v0
	v_pk_fma_f32 v[12:13], v[16:17], s[12:13], v[12:13] op_sel_hi:[1,0,1]
	v_pk_fma_f32 v[16:17], v[16:17], s[12:13], v[10:11] op_sel_hi:[1,0,1]
	v_mad_u32_u24 v7, v6, 20, 0
	v_cmp_gt_u32_e32 vcc, s5, v6
	v_lshlrev_b32_e32 v32, 4, v6
	ds_write_b32 v7, v0
	v_mov_b32_e32 v1, v12
	ds_write2_b32 v7, v13, v12 offset0:1 offset1:2
	ds_write2_b32 v7, v16, v17 offset0:3 offset1:4
	s_waitcnt lgkmcnt(0)
	s_barrier
	s_waitcnt lgkmcnt(0)
                                        ; implicit-def: $vgpr15
                                        ; implicit-def: $vgpr19
                                        ; implicit-def: $vgpr21
	s_and_saveexec_b64 s[10:11], vcc
	s_cbranch_execz .LBB0_15
; %bb.14:
	v_sub_u32_e32 v10, v7, v32
	v_add_u32_e32 v11, 0x200, v10
	ds_read2_b32 v[12:13], v11 offset0:122 offset1:247
	v_add_u32_e32 v11, 0x600, v10
	ds_read2_b32 v[0:1], v10 offset1:125
	ds_read2_b32 v[20:21], v11 offset0:116 offset1:241
	v_add_u32_e32 v11, 0xa00, v10
	v_add_u32_e32 v10, 0xe00, v10
	ds_read2_b32 v[18:19], v11 offset0:110 offset1:235
	ds_read2_b32 v[14:15], v10 offset0:104 offset1:229
	s_waitcnt lgkmcnt(4)
	v_mov_b32_e32 v16, v13
	s_waitcnt lgkmcnt(2)
	v_mov_b32_e32 v17, v20
	v_mov_b32_e32 v13, v1
.LBB0_15:
	s_or_b64 exec, exec, s[10:11]
	v_pk_add_f32 v[10:11], v[26:27], v[22:23]
	v_mov_b32_e32 v36, v27
	v_mov_b32_e32 v37, v23
	;; [unrolled: 1-line block ×4, first 2 shown]
	v_mul_f32_e32 v28, 0.5, v10
	v_sub_f32_e32 v1, v29, v30
	v_mov_b32_e32 v29, v23
	v_mul_f32_e32 v30, 0.5, v11
	v_pk_add_f32 v[10:11], v[38:39], v[36:37] neg_lo:[0,1] neg_hi:[0,1]
	v_pk_add_f32 v[42:43], v[24:25], v[22:23] op_sel_hi:[0,1]
	v_pk_add_f32 v[28:29], v[24:25], v[28:29] op_sel_hi:[0,1] neg_lo:[0,1] neg_hi:[0,1]
	v_add_f32_e32 v10, v10, v11
	v_pk_add_f32 v[24:25], v[24:25], v[30:31] neg_lo:[0,1] neg_hi:[0,1]
	v_pk_add_f32 v[40:41], v[36:37], v[38:39] neg_lo:[0,1] neg_hi:[0,1]
	v_mov_b32_e32 v29, v43
	v_mul_f32_e32 v20, 0x3e9e377a, v10
	v_mul_f32_e32 v10, 0x3f737871, v25
	v_mov_b32_e32 v11, v22
	s_mov_b32 s5, s4
	v_mul_f32_e32 v34, 0x3f167918, v1
	v_add_f32_e32 v33, v40, v41
	v_mov_b32_e32 v35, v26
	v_mov_b32_e32 v41, v27
	v_mul_f32_e32 v26, 0x3f737871, v1
	v_pk_add_f32 v[10:11], v[10:11], v[28:29]
	v_mov_b32_e32 v27, 0x3f167918
	v_pk_mul_f32 v[22:23], v[24:25], s[4:5]
	v_pk_add_f32 v[10:11], v[34:35], v[10:11]
	v_pk_add_f32 v[30:31], v[24:25], v[26:27]
	v_fmamk_f32 v35, v1, 0xbf737871, v24
	v_mov_b32_e32 v34, v23
	v_fmac_f32_e32 v28, 0xbf737871, v25
	v_pk_fma_f32 v[22:23], v[24:25], v[26:27], v[34:35]
	v_pk_add_f32 v[24:25], v[30:31], v[34:35] neg_lo:[0,1] neg_hi:[0,1]
	v_mul_f32_e32 v40, 0x3e9e377a, v33
	v_fmac_f32_e32 v28, 0xbf167918, v1
	v_mov_b32_e32 v25, v23
	v_fmac_f32_e32 v28, 0x3e9e377a, v33
	v_pk_add_f32 v[10:11], v[40:41], v[10:11]
	v_pk_add_f32 v[22:23], v[20:21], v[24:25] op_sel_hi:[0,1]
	s_waitcnt lgkmcnt(0)
	s_barrier
	v_mov_b32_e32 v20, v11
	ds_write2_b32 v7, v11, v28 offset1:1
	ds_write2_b32 v7, v22, v23 offset0:2 offset1:3
	ds_write_b32 v7, v10 offset:16
	s_waitcnt lgkmcnt(0)
	s_barrier
	s_waitcnt lgkmcnt(0)
                                        ; implicit-def: $vgpr25
                                        ; implicit-def: $vgpr27
                                        ; implicit-def: $vgpr29
	s_and_saveexec_b64 s[4:5], vcc
	s_cbranch_execz .LBB0_17
; %bb.16:
	v_sub_u32_e32 v1, v7, v32
	v_add_u32_e32 v7, 0x200, v1
	ds_read2_b32 v[22:23], v7 offset0:122 offset1:247
	v_add_u32_e32 v7, 0x600, v1
	ds_read2_b32 v[30:31], v1 offset1:125
	ds_read2_b32 v[28:29], v7 offset0:116 offset1:241
	v_add_u32_e32 v7, 0xa00, v1
	v_add_u32_e32 v1, 0xe00, v1
	ds_read2_b32 v[26:27], v7 offset0:110 offset1:235
	ds_read2_b32 v[24:25], v1 offset0:104 offset1:229
	s_waitcnt lgkmcnt(3)
	v_mov_b32_e32 v11, v30
	s_waitcnt lgkmcnt(2)
	v_mov_b32_e32 v10, v28
	v_mov_b32_e32 v28, v31
.LBB0_17:
	s_or_b64 exec, exec, s[4:5]
	s_movk_i32 s4, 0xcd
	v_mul_lo_u16_sdwa v1, v6, s4 dst_sel:DWORD dst_unused:UNUSED_PAD src0_sel:BYTE_0 src1_sel:DWORD
	v_lshrrev_b16_e32 v7, 10, v1
	v_mul_lo_u16_e32 v1, 5, v7
	v_sub_u16_e32 v20, v6, v1
	v_mov_b32_e32 v1, 9
	v_mul_u32_u24_sdwa v1, v20, v1 dst_sel:DWORD dst_unused:UNUSED_PAD src0_sel:BYTE_0 src1_sel:DWORD
	v_lshlrev_b32_e32 v1, 3, v1
	global_load_dwordx4 v[38:41], v1, s[8:9]
	global_load_dwordx4 v[42:45], v1, s[8:9] offset:16
	global_load_dwordx4 v[46:49], v1, s[8:9] offset:32
	;; [unrolled: 1-line block ×3, first 2 shown]
	global_load_dwordx2 v[54:55], v1, s[8:9] offset:64
	s_mov_b32 s10, 0x3f737871
	s_mov_b32 s11, 0x3f167918
	s_waitcnt lgkmcnt(0)
	s_barrier
	s_waitcnt vmcnt(4)
	v_mul_f32_e32 v1, v28, v39
	v_mul_f32_e32 v30, v13, v39
	v_mul_f32_e32 v39, v22, v41
	v_mul_f32_e32 v34, v12, v41
	s_waitcnt vmcnt(3)
	v_mul_f32_e32 v41, v23, v43
	v_mul_f32_e32 v31, v16, v43
	v_mul_f32_e32 v43, v10, v45
	v_mul_f32_e32 v35, v17, v45
	;; [unrolled: 5-line block ×4, first 2 shown]
	v_fmac_f32_e32 v30, v28, v38
	s_waitcnt vmcnt(0)
	v_mul_f32_e32 v53, v25, v55
	v_mul_f32_e32 v28, v15, v55
	v_fma_f32 v1, v13, v38, -v1
	v_fmac_f32_e32 v35, v10, v44
	v_fma_f32 v10, v21, v46, -v45
	v_fma_f32 v13, v19, v50, -v49
	;; [unrolled: 1-line block ×4, first 2 shown]
	v_fmac_f32_e32 v31, v23, v42
	v_fma_f32 v16, v17, v44, -v43
	v_fmac_f32_e32 v32, v29, v46
	v_fma_f32 v17, v18, v48, -v47
	;; [unrolled: 2-line block ×3, first 2 shown]
	v_fma_f32 v14, v15, v54, -v53
	v_fmac_f32_e32 v28, v25, v54
	v_add_f32_e32 v15, v10, v13
	v_fmac_f32_e32 v34, v22, v40
	v_fmac_f32_e32 v36, v26, v48
	;; [unrolled: 1-line block ×3, first 2 shown]
	v_sub_f32_e32 v29, v31, v28
	v_sub_f32_e32 v21, v12, v10
	;; [unrolled: 1-line block ×3, first 2 shown]
	v_add_f32_e32 v23, v12, v14
	v_sub_f32_e32 v24, v10, v12
	v_sub_f32_e32 v25, v13, v14
	v_add_f32_e32 v26, v32, v33
	v_add_f32_e32 v43, v31, v28
	v_fma_f32 v19, -0.5, v15, v1
	v_sub_f32_e32 v39, v32, v33
	v_sub_f32_e32 v40, v12, v14
	;; [unrolled: 1-line block ×5, first 2 shown]
	v_add_f32_e32 v15, v21, v22
	v_fma_f32 v21, -0.5, v23, v1
	v_add_f32_e32 v46, v24, v25
	v_fma_f32 v22, -0.5, v26, v30
	v_fma_f32 v23, -0.5, v43, v30
	v_fmamk_f32 v25, v29, 0x3f737871, v19
	v_fmac_f32_e32 v19, 0xbf737871, v29
	v_sub_f32_e32 v44, v32, v31
	v_sub_f32_e32 v45, v33, v28
	v_add_f32_e32 v42, v27, v42
	v_fmamk_f32 v24, v39, 0xbf737871, v21
	v_fmac_f32_e32 v21, 0x3f737871, v39
	v_fmamk_f32 v27, v40, 0xbf737871, v22
	v_fmac_f32_e32 v22, 0x3f737871, v40
	;; [unrolled: 2-line block ×3, first 2 shown]
	v_fmac_f32_e32 v19, 0xbf167918, v39
	v_fmac_f32_e32 v23, 0xbf737871, v41
	;; [unrolled: 1-line block ×9, first 2 shown]
	v_add_f32_e32 v15, v44, v45
	v_fmac_f32_e32 v23, 0x3f167918, v40
	v_fmac_f32_e32 v24, 0x3e9e377a, v46
	;; [unrolled: 1-line block ×7, first 2 shown]
	s_and_saveexec_b64 s[4:5], vcc
	s_cbranch_execz .LBB0_19
; %bb.18:
	v_sub_f32_e32 v15, v38, v16
	v_sub_f32_e32 v29, v18, v17
	v_add_f32_e32 v15, v15, v29
	v_add_f32_e32 v29, v16, v17
	v_fma_f32 v29, -0.5, v29, v0
	v_sub_f32_e32 v39, v34, v37
	v_sub_f32_e32 v44, v16, v38
	;; [unrolled: 1-line block ×3, first 2 shown]
	v_fmamk_f32 v40, v39, 0xbf737871, v29
	v_sub_f32_e32 v41, v35, v36
	v_add_f32_e32 v44, v44, v45
	v_add_f32_e32 v45, v38, v18
	v_fmac_f32_e32 v29, 0x3f737871, v39
	v_fmac_f32_e32 v40, 0xbf167918, v41
	v_fma_f32 v45, -0.5, v45, v0
	v_fmac_f32_e32 v29, 0x3f167918, v41
	v_add_f32_e32 v0, v0, v38
	v_add_f32_e32 v1, v1, v12
	v_fmac_f32_e32 v40, 0x3e9e377a, v15
	v_fmac_f32_e32 v29, 0x3e9e377a, v15
	v_mul_f32_e32 v15, 0x3f167918, v27
	v_add_f32_e32 v0, v0, v16
	v_add_f32_e32 v1, v1, v10
	v_fmamk_f32 v46, v41, 0x3f737871, v45
	v_fmac_f32_e32 v45, 0xbf737871, v41
	v_fmac_f32_e32 v15, 0x3f4f1bbd, v25
	v_add_f32_e32 v0, v0, v17
	v_add_f32_e32 v1, v1, v13
	v_fmac_f32_e32 v46, 0xbf167918, v39
	v_fmac_f32_e32 v45, 0x3f167918, v39
	v_sub_f32_e32 v39, v29, v15
	v_add_f32_e32 v0, v0, v18
	v_add_f32_e32 v1, v1, v14
	;; [unrolled: 1-line block ×3, first 2 shown]
	v_mov_b32_e32 v29, 2
	v_mul_f32_e32 v42, 0x3f4f1bbd, v19
	v_fmac_f32_e32 v46, 0x3e9e377a, v44
	v_mul_f32_e32 v47, 0x3e9e377a, v21
	v_fmac_f32_e32 v45, 0x3e9e377a, v44
	v_mul_f32_e32 v44, 0x3f737871, v26
	v_sub_f32_e32 v10, v0, v1
	v_add_f32_e32 v0, v0, v1
	v_mul_u32_u24_e32 v1, 0xc8, v7
	v_lshlrev_b32_sdwa v29, v29, v20 dst_sel:DWORD dst_unused:UNUSED_PAD src0_sel:DWORD src1_sel:BYTE_0
	v_fma_f32 v42, v22, s11, -v42
	v_fma_f32 v47, v23, s10, -v47
	v_fmac_f32_e32 v44, 0x3e9e377a, v24
	v_add3_u32 v1, 0, v1, v29
	v_sub_f32_e32 v43, v40, v42
	v_sub_f32_e32 v48, v46, v47
	;; [unrolled: 1-line block ×3, first 2 shown]
	v_add_f32_e32 v12, v40, v42
	v_add_f32_e32 v13, v46, v47
	v_add_f32_e32 v14, v45, v44
	ds_write2_b32 v1, v0, v15 offset1:5
	ds_write2_b32 v1, v14, v13 offset0:10 offset1:15
	ds_write2_b32 v1, v12, v10 offset0:20 offset1:25
	ds_write2_b32 v1, v39, v49 offset0:30 offset1:35
	ds_write2_b32 v1, v48, v43 offset0:40 offset1:45
.LBB0_19:
	s_or_b64 exec, exec, s[4:5]
	v_lshl_add_u32 v14, v6, 2, 0
	v_add_u32_e32 v10, 0x7c0, v14
	s_waitcnt lgkmcnt(0)
	s_barrier
	ds_read2_b32 v[0:1], v14 offset1:250
	ds_read2_b32 v[12:13], v10 offset0:4 offset1:254
	ds_read_b32 v15, v14 offset:4000
	s_waitcnt lgkmcnt(0)
	s_barrier
	s_and_saveexec_b64 s[4:5], vcc
	s_cbranch_execz .LBB0_21
; %bb.20:
	v_add_f32_e32 v39, v35, v36
	v_fma_f32 v39, -0.5, v39, v11
	v_sub_f32_e32 v18, v38, v18
	v_fmamk_f32 v38, v18, 0xbf737871, v39
	v_sub_f32_e32 v16, v16, v17
	v_sub_f32_e32 v17, v34, v35
	;; [unrolled: 1-line block ×3, first 2 shown]
	v_fmac_f32_e32 v39, 0x3f737871, v18
	v_fmac_f32_e32 v38, 0xbf167918, v16
	v_add_f32_e32 v17, v17, v40
	v_fmac_f32_e32 v39, 0x3f167918, v16
	v_fmac_f32_e32 v38, 0x3e9e377a, v17
	;; [unrolled: 1-line block ×3, first 2 shown]
	v_add_f32_e32 v17, v34, v37
	v_add_f32_e32 v29, v11, v34
	v_fmac_f32_e32 v11, -0.5, v17
	v_add_f32_e32 v29, v29, v35
	v_fmamk_f32 v17, v16, 0x3f737871, v11
	v_sub_f32_e32 v34, v35, v34
	v_sub_f32_e32 v35, v36, v37
	v_fmac_f32_e32 v11, 0xbf737871, v16
	s_mov_b32 s10, 0xbf737871
	v_add_f32_e32 v34, v34, v35
	v_fmac_f32_e32 v11, 0x3f167918, v18
	v_add_f32_e32 v16, v30, v31
	v_mul_f32_e32 v23, 0x3e9e377a, v23
	v_fmac_f32_e32 v11, 0x3e9e377a, v34
	v_add_f32_e32 v16, v16, v32
	v_fma_f32 v21, v21, s10, -v23
	v_add_f32_e32 v29, v29, v36
	v_add_f32_e32 v16, v16, v33
	v_mul_f32_e32 v25, 0xbf167918, v25
	v_add_f32_e32 v23, v11, v21
	v_sub_f32_e32 v11, v11, v21
	v_mov_b32_e32 v21, 2
	v_add_f32_e32 v29, v29, v37
	s_mov_b32 s11, 0xbf167918
	v_fmac_f32_e32 v17, 0xbf167918, v18
	v_add_f32_e32 v16, v16, v28
	v_fmac_f32_e32 v25, 0x3f4f1bbd, v27
	v_mul_f32_e32 v24, 0xbf737871, v24
	v_mul_f32_e32 v22, 0x3f4f1bbd, v22
	v_mul_u32_u24_e32 v7, 0xc8, v7
	v_lshlrev_b32_sdwa v20, v21, v20 dst_sel:DWORD dst_unused:UNUSED_PAD src0_sel:DWORD src1_sel:BYTE_0
	v_fmac_f32_e32 v17, 0x3e9e377a, v34
	v_add_f32_e32 v18, v29, v16
	v_add_f32_e32 v27, v38, v25
	v_fmac_f32_e32 v24, 0x3e9e377a, v26
	v_fma_f32 v19, v19, s11, -v22
	v_add3_u32 v7, 0, v7, v20
	v_add_f32_e32 v26, v17, v24
	v_add_f32_e32 v22, v39, v19
	v_sub_f32_e32 v16, v29, v16
	v_sub_f32_e32 v25, v38, v25
	;; [unrolled: 1-line block ×4, first 2 shown]
	ds_write2_b32 v7, v18, v27 offset1:5
	ds_write2_b32 v7, v26, v23 offset0:10 offset1:15
	ds_write2_b32 v7, v22, v16 offset0:20 offset1:25
	ds_write2_b32 v7, v25, v17 offset0:30 offset1:35
	ds_write2_b32 v7, v11, v19 offset0:40 offset1:45
.LBB0_21:
	s_or_b64 exec, exec, s[4:5]
	v_mov_b32_e32 v7, 41
	v_mul_lo_u16_sdwa v7, v6, v7 dst_sel:DWORD dst_unused:UNUSED_PAD src0_sel:BYTE_0 src1_sel:DWORD
	v_lshrrev_b16_e32 v7, 11, v7
	v_mul_lo_u16_e32 v11, 50, v7
	v_sub_u16_e32 v11, v6, v11
	v_mov_b32_e32 v16, 5
	v_lshlrev_b32_sdwa v24, v16, v11 dst_sel:DWORD dst_unused:UNUSED_PAD src0_sel:DWORD src1_sel:BYTE_0
	s_waitcnt lgkmcnt(0)
	s_barrier
	global_load_dwordx4 v[16:19], v24, s[8:9] offset:360
	global_load_dwordx4 v[20:23], v24, s[8:9] offset:376
	ds_read2_b32 v[24:25], v14 offset1:250
	ds_read2_b32 v[26:27], v10 offset0:4 offset1:254
	ds_read_b32 v28, v14 offset:4000
	v_mov_b32_e32 v29, 2
	v_lshlrev_b32_sdwa v11, v29, v11 dst_sel:DWORD dst_unused:UNUSED_PAD src0_sel:DWORD src1_sel:BYTE_0
	s_waitcnt lgkmcnt(0)
	s_barrier
	s_mov_b32 s10, 0x3f737871
	s_mov_b32 s12, 0x3f167918
	;; [unrolled: 1-line block ×3, first 2 shown]
	s_waitcnt vmcnt(1)
	v_mul_f32_e32 v29, v25, v17
	v_mul_f32_e32 v17, v1, v17
	v_mul_f32_e32 v30, v26, v19
	v_mul_f32_e32 v19, v12, v19
	s_waitcnt vmcnt(0)
	v_mul_f32_e32 v31, v27, v21
	v_mul_f32_e32 v21, v13, v21
	;; [unrolled: 1-line block ×4, first 2 shown]
	v_fma_f32 v1, v1, v16, -v29
	v_fmac_f32_e32 v17, v25, v16
	v_fma_f32 v12, v12, v18, -v30
	v_fmac_f32_e32 v19, v26, v18
	;; [unrolled: 2-line block ×4, first 2 shown]
	v_add_f32_e32 v16, v0, v1
	v_add_f32_e32 v18, v12, v13
	v_sub_f32_e32 v25, v1, v12
	v_sub_f32_e32 v26, v15, v13
	v_add_f32_e32 v27, v1, v15
	v_add_f32_e32 v31, v19, v21
	;; [unrolled: 1-line block ×3, first 2 shown]
	v_sub_f32_e32 v20, v17, v23
	v_sub_f32_e32 v22, v19, v21
	;; [unrolled: 1-line block ×4, first 2 shown]
	v_add_f32_e32 v30, v24, v17
	v_sub_f32_e32 v32, v12, v13
	v_add_f32_e32 v12, v16, v12
	v_fma_f32 v16, -0.5, v18, v0
	v_add_f32_e32 v18, v25, v26
	v_fmac_f32_e32 v0, -0.5, v27
	v_fma_f32 v26, -0.5, v31, v24
	v_fmac_f32_e32 v24, -0.5, v35
	v_sub_f32_e32 v1, v1, v15
	v_sub_f32_e32 v33, v17, v19
	;; [unrolled: 1-line block ×3, first 2 shown]
	v_add_f32_e32 v25, v28, v29
	v_add_f32_e32 v19, v30, v19
	;; [unrolled: 1-line block ×3, first 2 shown]
	v_fmamk_f32 v13, v20, 0x3f737871, v16
	v_fmamk_f32 v28, v22, 0xbf737871, v0
	v_fmac_f32_e32 v0, 0x3f737871, v22
	v_fmamk_f32 v29, v32, 0x3f737871, v24
	v_fmac_f32_e32 v24, 0xbf737871, v32
	v_sub_f32_e32 v34, v23, v21
	v_sub_f32_e32 v36, v21, v23
	v_fmac_f32_e32 v16, 0xbf737871, v20
	v_add_f32_e32 v19, v19, v21
	v_fmamk_f32 v21, v1, 0xbf737871, v26
	v_fmac_f32_e32 v26, 0x3f737871, v1
	v_fmac_f32_e32 v13, 0x3f167918, v22
	;; [unrolled: 1-line block ×5, first 2 shown]
	v_mul_u32_u24_e32 v1, 0x3e8, v7
	v_add_f32_e32 v12, v12, v15
	v_fmac_f32_e32 v16, 0xbf167918, v22
	v_fmac_f32_e32 v28, 0x3f167918, v20
	;; [unrolled: 1-line block ×4, first 2 shown]
	v_add3_u32 v7, 0, v1, v11
	v_fmac_f32_e32 v16, 0x3e9e377a, v18
	v_fmac_f32_e32 v28, 0x3e9e377a, v25
	ds_write2_b32 v7, v12, v13 offset1:50
	ds_write2_b32 v7, v28, v0 offset0:100 offset1:150
	ds_write_b32 v7, v16 offset:800
	s_waitcnt lgkmcnt(0)
	s_barrier
	ds_read2_b32 v[0:1], v14 offset1:250
	ds_read2_b32 v[10:11], v10 offset0:4 offset1:254
	ds_read_b32 v12, v14 offset:4000
	v_add_f32_e32 v27, v33, v34
	v_fmac_f32_e32 v21, 0xbf167918, v32
	v_add_f32_e32 v17, v17, v36
	v_add_f32_e32 v15, v19, v23
	v_fmac_f32_e32 v26, 0x3f167918, v32
	v_fmac_f32_e32 v21, 0x3e9e377a, v27
	;; [unrolled: 1-line block ×5, first 2 shown]
	s_waitcnt lgkmcnt(0)
	s_barrier
	ds_write2_b32 v7, v15, v21 offset1:50
	ds_write2_b32 v7, v29, v24 offset0:100 offset1:150
	ds_write_b32 v7, v26 offset:800
	s_waitcnt lgkmcnt(0)
	s_barrier
	s_and_saveexec_b64 s[14:15], s[0:1]
	s_cbranch_execz .LBB0_23
; %bb.22:
	v_lshlrev_b32_e32 v6, 2, v6
	v_mov_b32_e32 v7, 0
	v_lshl_add_u64 v[6:7], v[6:7], 3, s[8:9]
	global_load_dwordx4 v[16:19], v[6:7], off offset:1960
	global_load_dwordx4 v[20:23], v[6:7], off offset:1976
	v_add_u32_e32 v25, 0x7c0, v14
	ds_read2_b32 v[6:7], v14 offset1:250
	ds_read_b32 v14, v14 offset:4000
	ds_read2_b32 v[32:33], v25 offset0:4 offset1:254
	v_mul_lo_u32 v13, s3, v4
	v_mul_lo_u32 v15, s2, v5
	v_mad_u64_u32 v[4:5], s[0:1], s2, v4, 0
	v_add3_u32 v5, v5, v15, v13
	v_lshl_add_u64 v[4:5], v[4:5], 3, s[6:7]
	v_lshl_add_u64 v[2:3], v[2:3], 3, v[4:5]
	s_waitcnt lgkmcnt(2)
	v_mov_b32_e32 v4, v7
	v_mov_b32_e32 v24, v1
	;; [unrolled: 1-line block ×3, first 2 shown]
	v_lshl_add_u64 v[2:3], v[8:9], 3, v[2:3]
	s_waitcnt lgkmcnt(0)
	v_mov_b32_e32 v8, v33
	v_mov_b32_e32 v28, v11
	;; [unrolled: 1-line block ×4, first 2 shown]
	v_add_co_u32_e32 v6, vcc, 0x1000, v2
	s_waitcnt vmcnt(1)
	v_pk_mul_f32 v[4:5], v[4:5], v[16:17] op_sel:[0,1] op_sel_hi:[0,0]
	v_mov_b32_e32 v34, v19
	v_mov_b32_e32 v35, v18
	s_waitcnt vmcnt(0)
	v_mov_b32_e32 v36, v23
	v_mov_b32_e32 v37, v22
	v_pk_mul_f32 v[8:9], v[8:9], v[20:21] op_sel:[0,1] op_sel_hi:[0,0]
	v_pk_fma_f32 v[24:25], v[24:25], v[16:17], v[4:5] neg_lo:[0,0,1] neg_hi:[0,0,1]
	v_pk_fma_f32 v[4:5], v[26:27], v[16:17], v[4:5] op_sel_hi:[0,1,1]
	v_pk_mul_f32 v[16:17], v[32:33], v[34:35] op_sel_hi:[0,1]
	v_pk_mul_f32 v[14:15], v[14:15], v[36:37] op_sel_hi:[0,1]
	v_pk_fma_f32 v[26:27], v[28:29], v[20:21], v[8:9] neg_lo:[0,0,1] neg_hi:[0,0,1]
	v_pk_fma_f32 v[8:9], v[30:31], v[20:21], v[8:9] op_sel_hi:[0,1,1]
	v_mov_b32_e32 v25, v5
	v_pk_fma_f32 v[4:5], v[10:11], v[18:19], v[16:17] neg_lo:[0,0,1] neg_hi:[0,0,1]
	v_pk_fma_f32 v[10:11], v[10:11], v[18:19], v[16:17] op_sel_hi:[0,1,1]
	v_pk_fma_f32 v[16:17], v[12:13], v[22:23], v[14:15] neg_lo:[0,0,1] neg_hi:[0,0,1]
	v_pk_fma_f32 v[12:13], v[12:13], v[22:23], v[14:15] op_sel_hi:[0,1,1]
	v_mov_b32_e32 v27, v9
	v_mov_b32_e32 v5, v11
	;; [unrolled: 1-line block ×3, first 2 shown]
	v_pk_add_f32 v[8:9], v[0:1], v[24:25]
	v_pk_add_f32 v[10:11], v[24:25], v[16:17] neg_lo:[0,1] neg_hi:[0,1]
	v_pk_add_f32 v[8:9], v[4:5], v[8:9]
	v_pk_add_f32 v[14:15], v[4:5], v[26:27]
	v_pk_add_f32 v[12:13], v[4:5], v[26:27] neg_lo:[0,1] neg_hi:[0,1]
	v_pk_add_f32 v[18:19], v[24:25], v[4:5] neg_lo:[0,1] neg_hi:[0,1]
	v_pk_add_f32 v[20:21], v[16:17], v[26:27] neg_lo:[0,1] neg_hi:[0,1]
	v_pk_add_f32 v[4:5], v[4:5], v[24:25] neg_lo:[0,1] neg_hi:[0,1]
	v_pk_add_f32 v[22:23], v[26:27], v[16:17] neg_lo:[0,1] neg_hi:[0,1]
	v_pk_add_f32 v[24:25], v[24:25], v[16:17]
	v_pk_add_f32 v[8:9], v[8:9], v[26:27]
	v_pk_fma_f32 v[14:15], v[14:15], 0.5, v[0:1] op_sel_hi:[1,0,1] neg_lo:[1,0,0] neg_hi:[1,0,0]
	v_pk_mul_f32 v[26:27], v[10:11], s[10:11] op_sel_hi:[1,0]
	v_pk_mul_f32 v[28:29], v[12:13], s[12:13] op_sel_hi:[1,0]
	v_pk_fma_f32 v[0:1], v[24:25], 0.5, v[0:1] op_sel_hi:[1,0,1] neg_lo:[1,0,0] neg_hi:[1,0,0]
	v_pk_mul_f32 v[12:13], v[12:13], s[10:11] op_sel_hi:[1,0]
	v_pk_add_f32 v[8:9], v[8:9], v[16:17]
	v_pk_add_f32 v[16:17], v[14:15], v[26:27] op_sel:[0,1] op_sel_hi:[1,0]
	v_pk_add_f32 v[14:15], v[14:15], v[26:27] op_sel:[0,1] op_sel_hi:[1,0] neg_lo:[0,1] neg_hi:[0,1]
	v_pk_add_f32 v[18:19], v[18:19], v[20:21]
	v_pk_mul_f32 v[10:11], v[10:11], s[12:13] op_sel_hi:[1,0]
	v_pk_add_f32 v[20:21], v[0:1], v[12:13] op_sel:[0,1] op_sel_hi:[1,0] neg_lo:[0,1] neg_hi:[0,1]
	v_pk_add_f32 v[0:1], v[0:1], v[12:13] op_sel:[0,1] op_sel_hi:[1,0]
	global_store_dwordx2 v[2:3], v[8:9], off
	v_pk_add_f32 v[8:9], v[14:15], v[28:29] op_sel:[0,1] op_sel_hi:[1,0] neg_lo:[0,1] neg_hi:[0,1]
	v_pk_add_f32 v[12:13], v[16:17], v[28:29] op_sel:[0,1] op_sel_hi:[1,0]
	v_pk_add_f32 v[0:1], v[0:1], v[10:11] op_sel:[0,1] op_sel_hi:[1,0] neg_lo:[0,1] neg_hi:[0,1]
	v_pk_add_f32 v[10:11], v[20:21], v[10:11] op_sel:[0,1] op_sel_hi:[1,0]
	v_mov_b32_e32 v14, v12
	v_mov_b32_e32 v15, v9
	v_pk_add_f32 v[4:5], v[4:5], v[22:23]
	v_mov_b32_e32 v16, v10
	v_mov_b32_e32 v17, v1
	;; [unrolled: 1-line block ×4, first 2 shown]
	v_pk_fma_f32 v[10:11], v[18:19], s[4:5], v[14:15] op_sel_hi:[1,0,1]
	v_addc_co_u32_e32 v7, vcc, 0, v3, vcc
	v_pk_fma_f32 v[12:13], v[4:5], s[4:5], v[16:17] op_sel_hi:[1,0,1]
	v_pk_fma_f32 v[0:1], v[4:5], s[4:5], v[0:1] op_sel_hi:[1,0,1]
	;; [unrolled: 1-line block ×3, first 2 shown]
	global_store_dwordx2 v[2:3], v[10:11], off offset:2000
	global_store_dwordx2 v[2:3], v[12:13], off offset:4000
	;; [unrolled: 1-line block ×4, first 2 shown]
.LBB0_23:
	s_endpgm
	.section	.rodata,"a",@progbits
	.p2align	6, 0x0
	.amdhsa_kernel fft_rtc_fwd_len1250_factors_5_10_5_5_wgs_250_tpt_250_halfLds_sp_op_CI_CI_unitstride_sbrr_dirReg
		.amdhsa_group_segment_fixed_size 0
		.amdhsa_private_segment_fixed_size 0
		.amdhsa_kernarg_size 104
		.amdhsa_user_sgpr_count 2
		.amdhsa_user_sgpr_dispatch_ptr 0
		.amdhsa_user_sgpr_queue_ptr 0
		.amdhsa_user_sgpr_kernarg_segment_ptr 1
		.amdhsa_user_sgpr_dispatch_id 0
		.amdhsa_user_sgpr_kernarg_preload_length 0
		.amdhsa_user_sgpr_kernarg_preload_offset 0
		.amdhsa_user_sgpr_private_segment_size 0
		.amdhsa_uses_dynamic_stack 0
		.amdhsa_enable_private_segment 0
		.amdhsa_system_sgpr_workgroup_id_x 1
		.amdhsa_system_sgpr_workgroup_id_y 0
		.amdhsa_system_sgpr_workgroup_id_z 0
		.amdhsa_system_sgpr_workgroup_info 0
		.amdhsa_system_vgpr_workitem_id 0
		.amdhsa_next_free_vgpr 56
		.amdhsa_next_free_sgpr 28
		.amdhsa_accum_offset 56
		.amdhsa_reserve_vcc 1
		.amdhsa_float_round_mode_32 0
		.amdhsa_float_round_mode_16_64 0
		.amdhsa_float_denorm_mode_32 3
		.amdhsa_float_denorm_mode_16_64 3
		.amdhsa_dx10_clamp 1
		.amdhsa_ieee_mode 1
		.amdhsa_fp16_overflow 0
		.amdhsa_tg_split 0
		.amdhsa_exception_fp_ieee_invalid_op 0
		.amdhsa_exception_fp_denorm_src 0
		.amdhsa_exception_fp_ieee_div_zero 0
		.amdhsa_exception_fp_ieee_overflow 0
		.amdhsa_exception_fp_ieee_underflow 0
		.amdhsa_exception_fp_ieee_inexact 0
		.amdhsa_exception_int_div_zero 0
	.end_amdhsa_kernel
	.text
.Lfunc_end0:
	.size	fft_rtc_fwd_len1250_factors_5_10_5_5_wgs_250_tpt_250_halfLds_sp_op_CI_CI_unitstride_sbrr_dirReg, .Lfunc_end0-fft_rtc_fwd_len1250_factors_5_10_5_5_wgs_250_tpt_250_halfLds_sp_op_CI_CI_unitstride_sbrr_dirReg
                                        ; -- End function
	.section	.AMDGPU.csdata,"",@progbits
; Kernel info:
; codeLenInByte = 4944
; NumSgprs: 34
; NumVgprs: 56
; NumAgprs: 0
; TotalNumVgprs: 56
; ScratchSize: 0
; MemoryBound: 0
; FloatMode: 240
; IeeeMode: 1
; LDSByteSize: 0 bytes/workgroup (compile time only)
; SGPRBlocks: 4
; VGPRBlocks: 6
; NumSGPRsForWavesPerEU: 34
; NumVGPRsForWavesPerEU: 56
; AccumOffset: 56
; Occupancy: 8
; WaveLimiterHint : 1
; COMPUTE_PGM_RSRC2:SCRATCH_EN: 0
; COMPUTE_PGM_RSRC2:USER_SGPR: 2
; COMPUTE_PGM_RSRC2:TRAP_HANDLER: 0
; COMPUTE_PGM_RSRC2:TGID_X_EN: 1
; COMPUTE_PGM_RSRC2:TGID_Y_EN: 0
; COMPUTE_PGM_RSRC2:TGID_Z_EN: 0
; COMPUTE_PGM_RSRC2:TIDIG_COMP_CNT: 0
; COMPUTE_PGM_RSRC3_GFX90A:ACCUM_OFFSET: 13
; COMPUTE_PGM_RSRC3_GFX90A:TG_SPLIT: 0
	.text
	.p2alignl 6, 3212836864
	.fill 256, 4, 3212836864
	.type	__hip_cuid_393287fb8e579f72,@object ; @__hip_cuid_393287fb8e579f72
	.section	.bss,"aw",@nobits
	.globl	__hip_cuid_393287fb8e579f72
__hip_cuid_393287fb8e579f72:
	.byte	0                               ; 0x0
	.size	__hip_cuid_393287fb8e579f72, 1

	.ident	"AMD clang version 19.0.0git (https://github.com/RadeonOpenCompute/llvm-project roc-6.4.0 25133 c7fe45cf4b819c5991fe208aaa96edf142730f1d)"
	.section	".note.GNU-stack","",@progbits
	.addrsig
	.addrsig_sym __hip_cuid_393287fb8e579f72
	.amdgpu_metadata
---
amdhsa.kernels:
  - .agpr_count:     0
    .args:
      - .actual_access:  read_only
        .address_space:  global
        .offset:         0
        .size:           8
        .value_kind:     global_buffer
      - .offset:         8
        .size:           8
        .value_kind:     by_value
      - .actual_access:  read_only
        .address_space:  global
        .offset:         16
        .size:           8
        .value_kind:     global_buffer
      - .actual_access:  read_only
        .address_space:  global
        .offset:         24
        .size:           8
        .value_kind:     global_buffer
      - .actual_access:  read_only
        .address_space:  global
        .offset:         32
        .size:           8
        .value_kind:     global_buffer
      - .offset:         40
        .size:           8
        .value_kind:     by_value
      - .actual_access:  read_only
        .address_space:  global
        .offset:         48
        .size:           8
        .value_kind:     global_buffer
      - .actual_access:  read_only
        .address_space:  global
        .offset:         56
        .size:           8
        .value_kind:     global_buffer
      - .offset:         64
        .size:           4
        .value_kind:     by_value
      - .actual_access:  read_only
        .address_space:  global
        .offset:         72
        .size:           8
        .value_kind:     global_buffer
      - .actual_access:  read_only
        .address_space:  global
        .offset:         80
        .size:           8
        .value_kind:     global_buffer
      - .actual_access:  read_only
        .address_space:  global
        .offset:         88
        .size:           8
        .value_kind:     global_buffer
      - .actual_access:  write_only
        .address_space:  global
        .offset:         96
        .size:           8
        .value_kind:     global_buffer
    .group_segment_fixed_size: 0
    .kernarg_segment_align: 8
    .kernarg_segment_size: 104
    .language:       OpenCL C
    .language_version:
      - 2
      - 0
    .max_flat_workgroup_size: 250
    .name:           fft_rtc_fwd_len1250_factors_5_10_5_5_wgs_250_tpt_250_halfLds_sp_op_CI_CI_unitstride_sbrr_dirReg
    .private_segment_fixed_size: 0
    .sgpr_count:     34
    .sgpr_spill_count: 0
    .symbol:         fft_rtc_fwd_len1250_factors_5_10_5_5_wgs_250_tpt_250_halfLds_sp_op_CI_CI_unitstride_sbrr_dirReg.kd
    .uniform_work_group_size: 1
    .uses_dynamic_stack: false
    .vgpr_count:     56
    .vgpr_spill_count: 0
    .wavefront_size: 64
amdhsa.target:   amdgcn-amd-amdhsa--gfx950
amdhsa.version:
  - 1
  - 2
...

	.end_amdgpu_metadata
